;; amdgpu-corpus repo=ROCm/rocFFT kind=compiled arch=gfx950 opt=O3
	.text
	.amdgcn_target "amdgcn-amd-amdhsa--gfx950"
	.amdhsa_code_object_version 6
	.protected	fft_rtc_fwd_len125_factors_5_5_5_wgs_250_tpt_25_dp_op_CI_CI_sbrc_xy_z_aligned_dirReg ; -- Begin function fft_rtc_fwd_len125_factors_5_5_5_wgs_250_tpt_25_dp_op_CI_CI_sbrc_xy_z_aligned_dirReg
	.globl	fft_rtc_fwd_len125_factors_5_5_5_wgs_250_tpt_25_dp_op_CI_CI_sbrc_xy_z_aligned_dirReg
	.p2align	8
	.type	fft_rtc_fwd_len125_factors_5_5_5_wgs_250_tpt_25_dp_op_CI_CI_sbrc_xy_z_aligned_dirReg,@function
fft_rtc_fwd_len125_factors_5_5_5_wgs_250_tpt_25_dp_op_CI_CI_sbrc_xy_z_aligned_dirReg: ; @fft_rtc_fwd_len125_factors_5_5_5_wgs_250_tpt_25_dp_op_CI_CI_sbrc_xy_z_aligned_dirReg
; %bb.0:
	s_load_dwordx4 s[12:15], s[0:1], 0x10
	s_mov_b32 s3, 0
	s_mov_b32 s31, s3
	s_mov_b64 s[28:29], 0
	s_waitcnt lgkmcnt(0)
	s_load_dwordx4 s[20:23], s[12:13], 0x8
	s_load_dwordx2 s[24:25], s[0:1], 0x0
	s_load_dwordx4 s[8:11], s[0:1], 0x58
	s_load_dwordx2 s[26:27], s[0:1], 0x20
	s_waitcnt lgkmcnt(0)
	s_add_i32 s4, s22, -1
	s_mul_hi_u32 s4, s4, 0xcccccccd
	s_lshr_b32 s4, s4, 3
	s_add_i32 s4, s4, 1
	s_mul_i32 s30, s4, s20
	v_cvt_f32_u32_e32 v1, s30
	s_load_dwordx4 s[16:19], s[14:15], 0x0
	s_load_dwordx2 s[22:23], s[14:15], 0x10
	s_load_dwordx4 s[4:7], s[26:27], 0x0
	s_load_dwordx2 s[12:13], s[26:27], 0x10
	s_waitcnt lgkmcnt(0)
	s_sub_i32 s7, 0, s30
	v_rcp_iflag_f32_e32 v1, v1
	v_mov_b64_e32 v[2:3], s[20:21]
	v_mul_f32_e32 v1, 0x4f7ffffe, v1
	v_cvt_u32_f32_e32 v1, v1
	s_nop 0
	v_readfirstlane_b32 s13, v1
	s_mul_i32 s7, s7, s13
	s_mul_hi_u32 s7, s13, s7
	s_add_i32 s13, s13, s7
	s_mul_hi_u32 s7, s2, s13
	s_mul_i32 s13, s7, s30
	s_sub_i32 s13, s2, s13
	s_add_i32 s19, s7, 1
	s_sub_i32 s23, s13, s30
	s_cmp_ge_u32 s13, s30
	s_cselect_b32 s7, s19, s7
	s_cselect_b32 s13, s23, s13
	s_add_i32 s19, s7, 1
	s_cmp_ge_u32 s13, s30
	s_cselect_b32 s7, s19, s7
	s_mul_i32 s13, s7, s30
	v_cvt_f32_u32_e32 v1, s20
	s_sub_i32 s30, s2, s13
	v_cmp_lt_u64_e32 vcc, s[30:31], v[2:3]
	s_cbranch_vccnz .LBB0_2
; %bb.1:
	v_rcp_iflag_f32_e32 v2, v1
	s_sub_i32 s13, 0, s20
	v_mul_f32_e32 v2, 0x4f7ffffe, v2
	v_cvt_u32_f32_e32 v2, v2
	s_nop 0
	v_readfirstlane_b32 s19, v2
	s_mul_i32 s13, s13, s19
	s_mul_hi_u32 s13, s19, s13
	s_add_i32 s19, s19, s13
	s_mul_hi_u32 s13, s30, s19
	s_mul_i32 s23, s13, s20
	s_sub_i32 s23, s30, s23
	s_add_i32 s19, s13, 1
	s_sub_i32 s28, s23, s20
	s_cmp_ge_u32 s23, s20
	s_cselect_b32 s13, s19, s13
	s_cselect_b32 s23, s28, s23
	s_add_i32 s19, s13, 1
	s_cmp_ge_u32 s23, s20
	s_cselect_b32 s28, s19, s13
.LBB0_2:
	v_mov_b64_e32 v[2:3], s[20:21]
	v_cmp_lt_u64_e32 vcc, s[2:3], v[2:3]
	s_cbranch_vccnz .LBB0_4
; %bb.3:
	v_rcp_iflag_f32_e32 v1, v1
	s_sub_i32 s3, 0, s20
	v_mul_f32_e32 v1, 0x4f7ffffe, v1
	v_cvt_u32_f32_e32 v1, v1
	s_nop 0
	v_readfirstlane_b32 s13, v1
	s_mul_i32 s3, s3, s13
	s_mul_hi_u32 s3, s13, s3
	s_add_i32 s13, s13, s3
	s_mul_hi_u32 s3, s2, s13
	s_mul_i32 s3, s3, s20
	s_sub_i32 s2, s2, s3
	s_sub_i32 s3, s2, s20
	s_cmp_ge_u32 s2, s20
	s_cselect_b32 s2, s3, s2
	s_sub_i32 s3, s2, s20
	s_cmp_ge_u32 s2, s20
	s_cselect_b32 s2, s3, s2
.LBB0_4:
	s_load_dwordx2 s[20:21], s[0:1], 0x8
	s_mul_i32 s0, s28, 10
	s_mul_i32 s1, s2, s18
	;; [unrolled: 1-line block ×3, first 2 shown]
	s_add_i32 s18, s1, s3
	s_waitcnt lgkmcnt(0)
	s_lshl_b64 s[20:21], s[20:21], 3
	s_add_u32 s14, s14, s20
	s_addc_u32 s15, s15, s21
	s_load_dwordx2 s[14:15], s[14:15], 0x0
	v_mul_u32_u24_e32 v1, 0x20d, v0
	v_lshrrev_b32_e32 v1, 16, v1
	v_mul_lo_u16_e32 v2, 0x7d, v1
	v_sub_u16_e32 v26, v0, v2
	s_waitcnt lgkmcnt(0)
	s_mul_i32 s1, s15, s7
	s_mul_hi_u32 s3, s14, s7
	s_add_i32 s15, s3, s1
	s_add_u32 s20, s26, s20
	s_addc_u32 s21, s27, s21
	s_load_dwordx2 s[20:21], s[20:21], 0x0
	s_mul_i32 s14, s14, s7
	s_lshl_b64 s[14:15], s[14:15], 4
	s_mov_b32 s19, 0
	v_mad_u64_u32 v[4:5], s[26:27], s16, v26, 0
	s_waitcnt lgkmcnt(0)
	s_mul_i32 s1, s21, s7
	s_mul_hi_u32 s3, s20, s7
	s_add_i32 s3, s3, s1
	s_add_u32 s1, s8, s14
	v_mov_b32_e32 v2, v5
	s_addc_u32 s13, s9, s15
	s_lshl_b64 s[8:9], s[18:19], 4
	v_mad_u64_u32 v[2:3], s[16:17], s17, v26, v[2:3]
	s_add_u32 s8, s1, s8
	v_mov_b32_e32 v5, v2
	s_addc_u32 s9, s13, s9
	v_mul_lo_u32 v2, s22, v1
	v_mov_b32_e32 v3, 0
	v_lshl_add_u64 v[4:5], v[4:5], 4, s[8:9]
	s_lshl_b32 s1, s22, 1
	v_lshl_add_u64 v[14:15], v[2:3], 4, v[4:5]
	v_add_u32_e32 v2, s1, v2
	v_lshl_add_u64 v[16:17], v[2:3], 4, v[4:5]
	v_add_u32_e32 v2, s1, v2
	v_lshl_add_u64 v[22:23], v[2:3], 4, v[4:5]
	v_add_u32_e32 v2, s1, v2
	global_load_dwordx4 v[6:9], v[14:15], off
	global_load_dwordx4 v[10:13], v[16:17], off
	v_lshl_add_u64 v[24:25], v[2:3], 4, v[4:5]
	global_load_dwordx4 v[14:17], v[22:23], off
	global_load_dwordx4 v[18:21], v[24:25], off
	v_add_u32_e32 v2, s1, v2
	v_lshl_add_u64 v[4:5], v[2:3], 4, v[4:5]
	global_load_dwordx4 v[22:25], v[4:5], off
	v_mul_u32_u24_e32 v2, 0x199a, v0
	v_lshrrev_b32_e32 v2, 16, v2
	v_mul_lo_u16_e32 v4, 10, v2
	v_sub_u16_e32 v4, v0, v4
	v_mul_lo_u16_e32 v26, 10, v26
	v_lshlrev_b32_e32 v1, 4, v1
	v_mul_u32_u24_e32 v5, 0xa0, v2
	v_lshlrev_b32_e32 v52, 4, v4
	v_lshlrev_b32_e32 v26, 4, v26
	v_add3_u32 v5, 0, v5, v52
	v_add3_u32 v27, 0, v26, v1
	;; [unrolled: 1-line block ×3, first 2 shown]
	s_mov_b32 s14, 0x134454ff
	s_mov_b32 s15, 0x3fee6f0e
	;; [unrolled: 1-line block ×10, first 2 shown]
	s_movk_i32 s1, 0x280
	s_mul_i32 s12, s2, s12
	s_mul_i32 s2, s20, s7
	s_mov_b32 s13, s19
	s_movk_i32 s18, 0x7d
	v_mul_u32_u24_e32 v0, 0x107, v0
	v_mul_lo_u16_sdwa v0, v0, s18 dst_sel:DWORD dst_unused:UNUSED_PAD src0_sel:WORD_1 src1_sel:DWORD
	s_waitcnt vmcnt(4)
	ds_write_b128 v27, v[6:9]
	s_waitcnt vmcnt(3)
	ds_write_b128 v1, v[10:13] offset:32
	s_waitcnt vmcnt(2)
	ds_write_b128 v1, v[14:17] offset:64
	;; [unrolled: 2-line block ×4, first 2 shown]
	s_waitcnt lgkmcnt(0)
	s_barrier
	ds_read_b128 v[6:9], v5
	ds_read_b128 v[10:13], v5 offset:4000
	ds_read_b128 v[14:17], v5 offset:8000
	;; [unrolled: 1-line block ×4, first 2 shown]
	v_mad_u32_u24 v1, v2, s1, v5
	s_waitcnt lgkmcnt(3)
	v_add_f64 v[26:27], v[6:7], v[10:11]
	s_waitcnt lgkmcnt(2)
	v_add_f64 v[30:31], v[10:11], -v[14:15]
	s_waitcnt lgkmcnt(1)
	v_add_f64 v[28:29], v[14:15], v[18:19]
	s_waitcnt lgkmcnt(0)
	v_add_f64 v[38:39], v[10:11], v[22:23]
	v_add_f64 v[36:37], v[16:17], -v[20:21]
	v_add_f64 v[34:35], v[22:23], -v[18:19]
	;; [unrolled: 1-line block ×4, first 2 shown]
	v_add_f64 v[44:45], v[8:9], v[12:13]
	v_add_f64 v[46:47], v[16:17], v[20:21]
	;; [unrolled: 1-line block ×3, first 2 shown]
	v_fma_f64 v[26:27], -0.5, v[28:29], v[6:7]
	v_fmac_f64_e32 v[6:7], -0.5, v[38:39]
	v_add_f64 v[32:33], v[12:13], -v[24:25]
	v_add_f64 v[10:11], v[10:11], -v[22:23]
	v_add_f64 v[50:51], v[30:31], v[34:35]
	v_add_f64 v[42:43], v[40:41], v[42:43]
	;; [unrolled: 1-line block ×3, first 2 shown]
	v_fma_f64 v[28:29], -0.5, v[46:47], v[8:9]
	v_add_f64 v[40:41], v[48:49], v[18:19]
	v_fma_f64 v[34:35], s[22:23], v[36:37], v[6:7]
	v_fmac_f64_e32 v[6:7], s[14:15], v[36:37]
	v_fma_f64 v[30:31], s[14:15], v[32:33], v[26:27]
	v_fmac_f64_e32 v[26:27], s[22:23], v[32:33]
	v_add_f64 v[44:45], v[38:39], v[20:21]
	v_add_f64 v[38:39], v[40:41], v[22:23]
	v_fmac_f64_e32 v[34:35], s[8:9], v[32:33]
	v_fmac_f64_e32 v[6:7], s[26:27], v[32:33]
	v_fma_f64 v[32:33], s[22:23], v[10:11], v[28:29]
	v_add_f64 v[14:15], v[14:15], -v[18:19]
	v_add_f64 v[18:19], v[12:13], -v[16:17]
	;; [unrolled: 1-line block ×3, first 2 shown]
	v_fmac_f64_e32 v[28:29], s[14:15], v[10:11]
	v_fmac_f64_e32 v[32:33], s[26:27], v[14:15]
	v_add_f64 v[18:19], v[18:19], v[22:23]
	v_fmac_f64_e32 v[28:29], s[8:9], v[14:15]
	v_fmac_f64_e32 v[32:33], s[16:17], v[18:19]
	;; [unrolled: 1-line block ×3, first 2 shown]
	v_add_f64 v[18:19], v[12:13], v[24:25]
	v_fmac_f64_e32 v[8:9], -0.5, v[18:19]
	v_fmac_f64_e32 v[30:31], s[8:9], v[36:37]
	v_fmac_f64_e32 v[26:27], s[26:27], v[36:37]
	v_fma_f64 v[36:37], s[14:15], v[14:15], v[8:9]
	v_add_f64 v[12:13], v[16:17], -v[12:13]
	v_add_f64 v[16:17], v[20:21], -v[24:25]
	v_fmac_f64_e32 v[8:9], s[22:23], v[14:15]
	v_add_f64 v[40:41], v[44:45], v[24:25]
	v_fmac_f64_e32 v[36:37], s[26:27], v[10:11]
	v_add_f64 v[12:13], v[12:13], v[16:17]
	v_fmac_f64_e32 v[8:9], s[8:9], v[10:11]
	v_fmac_f64_e32 v[30:31], s[16:17], v[50:51]
	;; [unrolled: 1-line block ×7, first 2 shown]
	s_barrier
	ds_write_b128 v1, v[38:41]
	ds_write_b128 v1, v[30:33] offset:160
	ds_write_b128 v1, v[34:37] offset:320
	;; [unrolled: 1-line block ×4, first 2 shown]
	v_mul_lo_u16_e32 v1, 52, v2
	v_lshrrev_b16_e32 v1, 8, v1
	v_mul_lo_u16_e32 v6, 5, v1
	v_sub_u16_e32 v6, v2, v6
	v_and_b32_e32 v50, 0xff, v6
	v_lshlrev_b32_e32 v22, 6, v50
	s_waitcnt lgkmcnt(0)
	s_barrier
	global_load_dwordx4 v[6:9], v22, s[24:25]
	global_load_dwordx4 v[10:13], v22, s[24:25] offset:16
	global_load_dwordx4 v[14:17], v22, s[24:25] offset:32
	;; [unrolled: 1-line block ×3, first 2 shown]
	ds_read_b128 v[22:25], v5 offset:4000
	ds_read_b128 v[26:29], v5
	ds_read_b128 v[30:33], v5 offset:8000
	ds_read_b128 v[34:37], v5 offset:12000
	;; [unrolled: 1-line block ×3, first 2 shown]
	v_mad_u32_u24 v1, v1, 25, v50
	v_mul_u32_u24_e32 v1, 0xa0, v1
	v_add3_u32 v1, 0, v1, v52
	s_waitcnt lgkmcnt(0)
	s_barrier
	s_mov_b32 s1, s19
	s_waitcnt vmcnt(3)
	v_mul_f64 v[42:43], v[24:25], v[8:9]
	v_mul_f64 v[44:45], v[22:23], v[8:9]
	s_waitcnt vmcnt(2)
	v_mul_f64 v[8:9], v[32:33], v[12:13]
	v_mul_f64 v[46:47], v[30:31], v[12:13]
	;; [unrolled: 3-line block ×3, first 2 shown]
	s_waitcnt vmcnt(0)
	v_mul_f64 v[16:17], v[40:41], v[20:21]
	v_fma_f64 v[22:23], v[22:23], v[6:7], -v[42:43]
	v_fmac_f64_e32 v[44:45], v[24:25], v[6:7]
	v_mul_f64 v[24:25], v[38:39], v[20:21]
	v_fma_f64 v[30:31], v[30:31], v[10:11], -v[8:9]
	v_fmac_f64_e32 v[46:47], v[32:33], v[10:11]
	v_fma_f64 v[32:33], v[34:35], v[14:15], -v[12:13]
	v_fma_f64 v[12:13], v[38:39], v[18:19], -v[16:17]
	v_fmac_f64_e32 v[24:25], v[40:41], v[18:19]
	v_add_f64 v[6:7], v[26:27], v[22:23]
	v_add_f64 v[8:9], v[30:31], v[32:33]
	v_fmac_f64_e32 v[48:49], v[36:37], v[14:15]
	v_add_f64 v[16:17], v[44:45], -v[24:25]
	v_add_f64 v[10:11], v[22:23], -v[30:31]
	;; [unrolled: 1-line block ×3, first 2 shown]
	v_add_f64 v[36:37], v[6:7], v[30:31]
	v_fma_f64 v[6:7], -0.5, v[8:9], v[26:27]
	v_add_f64 v[20:21], v[46:47], -v[48:49]
	v_add_f64 v[18:19], v[22:23], v[12:13]
	v_add_f64 v[8:9], v[10:11], v[14:15]
	v_fma_f64 v[10:11], s[14:15], v[16:17], v[6:7]
	v_fmac_f64_e32 v[6:7], s[22:23], v[16:17]
	v_fmac_f64_e32 v[26:27], -0.5, v[18:19]
	v_fmac_f64_e32 v[10:11], s[8:9], v[20:21]
	v_fmac_f64_e32 v[6:7], s[26:27], v[20:21]
	v_add_f64 v[34:35], v[30:31], -v[22:23]
	v_fma_f64 v[14:15], s[22:23], v[20:21], v[26:27]
	v_fmac_f64_e32 v[10:11], s[16:17], v[8:9]
	v_fmac_f64_e32 v[6:7], s[16:17], v[8:9]
	v_add_f64 v[8:9], v[32:33], -v[12:13]
	v_fmac_f64_e32 v[26:27], s[14:15], v[20:21]
	v_fmac_f64_e32 v[14:15], s[8:9], v[16:17]
	v_add_f64 v[8:9], v[34:35], v[8:9]
	v_fmac_f64_e32 v[26:27], s[26:27], v[16:17]
	v_fmac_f64_e32 v[14:15], s[16:17], v[8:9]
	;; [unrolled: 1-line block ×3, first 2 shown]
	v_add_f64 v[8:9], v[28:29], v[44:45]
	v_add_f64 v[8:9], v[8:9], v[46:47]
	v_add_f64 v[8:9], v[8:9], v[48:49]
	v_add_f64 v[20:21], v[8:9], v[24:25]
	v_add_f64 v[8:9], v[46:47], v[48:49]
	v_add_f64 v[18:19], v[36:37], v[32:33]
	v_fma_f64 v[8:9], -0.5, v[8:9], v[28:29]
	v_add_f64 v[22:23], v[22:23], -v[12:13]
	v_add_f64 v[18:19], v[18:19], v[12:13]
	v_fma_f64 v[12:13], s[22:23], v[22:23], v[8:9]
	v_add_f64 v[30:31], v[30:31], -v[32:33]
	v_add_f64 v[16:17], v[44:45], -v[46:47]
	;; [unrolled: 1-line block ×3, first 2 shown]
	v_fmac_f64_e32 v[8:9], s[14:15], v[22:23]
	v_fmac_f64_e32 v[12:13], s[26:27], v[30:31]
	v_add_f64 v[16:17], v[16:17], v[32:33]
	v_fmac_f64_e32 v[8:9], s[8:9], v[30:31]
	v_fmac_f64_e32 v[12:13], s[16:17], v[16:17]
	;; [unrolled: 1-line block ×3, first 2 shown]
	v_add_f64 v[16:17], v[44:45], v[24:25]
	v_fmac_f64_e32 v[28:29], -0.5, v[16:17]
	v_fma_f64 v[16:17], s[14:15], v[30:31], v[28:29]
	v_add_f64 v[32:33], v[46:47], -v[44:45]
	v_add_f64 v[24:25], v[48:49], -v[24:25]
	v_fmac_f64_e32 v[28:29], s[22:23], v[30:31]
	v_fmac_f64_e32 v[16:17], s[26:27], v[22:23]
	v_add_f64 v[24:25], v[32:33], v[24:25]
	v_fmac_f64_e32 v[28:29], s[8:9], v[22:23]
	v_fmac_f64_e32 v[16:17], s[16:17], v[24:25]
	;; [unrolled: 1-line block ×3, first 2 shown]
	ds_write_b128 v1, v[18:21]
	ds_write_b128 v1, v[10:13] offset:800
	ds_write_b128 v1, v[14:17] offset:1600
	ds_write_b128 v1, v[26:29] offset:2400
	ds_write_b128 v1, v[6:9] offset:3200
	v_mul_lo_u16_e32 v1, 21, v2
	v_lshrrev_b16_e32 v1, 9, v1
	v_mul_lo_u16_e32 v1, 25, v1
	v_sub_u16_e32 v1, v2, v1
	v_mov_b32_e32 v2, 6
	v_lshlrev_b32_sdwa v2, v2, v1 dst_sel:DWORD dst_unused:UNUSED_PAD src0_sel:DWORD src1_sel:BYTE_0
	s_waitcnt lgkmcnt(0)
	s_barrier
	global_load_dwordx4 v[6:9], v2, s[24:25] offset:320
	global_load_dwordx4 v[10:13], v2, s[24:25] offset:336
	;; [unrolled: 1-line block ×4, first 2 shown]
	ds_read_b128 v[22:25], v5
	ds_read_b128 v[26:29], v5 offset:4000
	ds_read_b128 v[30:33], v5 offset:8000
	;; [unrolled: 1-line block ×4, first 2 shown]
	v_mov_b32_e32 v5, v3
	v_lshl_add_u64 v[4:5], s[0:1], 0, v[4:5]
	v_mul_lo_u32 v2, v5, s4
	v_add_u32_sdwa v0, v1, v0 dst_sel:DWORD dst_unused:UNUSED_PAD src0_sel:BYTE_0 src1_sel:DWORD
	s_waitcnt vmcnt(3) lgkmcnt(3)
	v_mul_f64 v[42:43], v[28:29], v[8:9]
	v_mul_f64 v[44:45], v[26:27], v[8:9]
	s_waitcnt vmcnt(2) lgkmcnt(2)
	v_mul_f64 v[8:9], v[32:33], v[12:13]
	v_mul_f64 v[46:47], v[30:31], v[12:13]
	s_waitcnt vmcnt(1) lgkmcnt(1)
	v_mul_f64 v[12:13], v[36:37], v[16:17]
	v_fmac_f64_e32 v[44:45], v[28:29], v[6:7]
	v_fma_f64 v[28:29], v[30:31], v[10:11], -v[8:9]
	v_fmac_f64_e32 v[46:47], v[32:33], v[10:11]
	v_fma_f64 v[30:31], v[34:35], v[14:15], -v[12:13]
	s_waitcnt vmcnt(0) lgkmcnt(0)
	v_mul_f64 v[32:33], v[38:39], v[20:21]
	v_mul_f64 v[48:49], v[34:35], v[16:17]
	;; [unrolled: 1-line block ×3, first 2 shown]
	v_fmac_f64_e32 v[32:33], v[40:41], v[18:19]
	v_add_f64 v[8:9], v[28:29], v[30:31]
	v_fma_f64 v[26:27], v[26:27], v[6:7], -v[42:43]
	v_fmac_f64_e32 v[48:49], v[36:37], v[14:15]
	v_fma_f64 v[16:17], v[38:39], v[18:19], -v[16:17]
	v_fma_f64 v[10:11], -0.5, v[8:9], v[22:23]
	v_add_f64 v[8:9], v[44:45], -v[32:33]
	v_fma_f64 v[14:15], s[14:15], v[8:9], v[10:11]
	v_add_f64 v[12:13], v[46:47], -v[48:49]
	v_add_f64 v[18:19], v[26:27], -v[28:29]
	;; [unrolled: 1-line block ×3, first 2 shown]
	v_fmac_f64_e32 v[10:11], s[22:23], v[8:9]
	v_fmac_f64_e32 v[14:15], s[8:9], v[12:13]
	v_add_f64 v[18:19], v[18:19], v[20:21]
	v_fmac_f64_e32 v[10:11], s[26:27], v[12:13]
	v_fmac_f64_e32 v[14:15], s[16:17], v[18:19]
	v_fmac_f64_e32 v[10:11], s[16:17], v[18:19]
	v_add_f64 v[18:19], v[26:27], v[16:17]
	v_add_f64 v[6:7], v[22:23], v[26:27]
	v_fmac_f64_e32 v[22:23], -0.5, v[18:19]
	v_add_f64 v[6:7], v[6:7], v[28:29]
	v_fma_f64 v[18:19], s[22:23], v[12:13], v[22:23]
	v_add_f64 v[20:21], v[28:29], -v[26:27]
	v_add_f64 v[34:35], v[30:31], -v[16:17]
	v_fmac_f64_e32 v[22:23], s[14:15], v[12:13]
	v_add_f64 v[12:13], v[46:47], v[48:49]
	v_add_f64 v[6:7], v[6:7], v[30:31]
	v_fmac_f64_e32 v[18:19], s[8:9], v[8:9]
	v_add_f64 v[20:21], v[20:21], v[34:35]
	v_fmac_f64_e32 v[22:23], s[26:27], v[8:9]
	v_fma_f64 v[12:13], -0.5, v[12:13], v[24:25]
	v_add_f64 v[26:27], v[26:27], -v[16:17]
	v_add_f64 v[6:7], v[6:7], v[16:17]
	v_fmac_f64_e32 v[18:19], s[16:17], v[20:21]
	v_fmac_f64_e32 v[22:23], s[16:17], v[20:21]
	v_fma_f64 v[16:17], s[22:23], v[26:27], v[12:13]
	v_add_f64 v[28:29], v[28:29], -v[30:31]
	v_add_f64 v[20:21], v[44:45], -v[46:47]
	;; [unrolled: 1-line block ×3, first 2 shown]
	v_fmac_f64_e32 v[12:13], s[14:15], v[26:27]
	v_fmac_f64_e32 v[16:17], s[26:27], v[28:29]
	v_add_f64 v[20:21], v[20:21], v[30:31]
	v_fmac_f64_e32 v[12:13], s[8:9], v[28:29]
	v_fmac_f64_e32 v[16:17], s[16:17], v[20:21]
	;; [unrolled: 1-line block ×3, first 2 shown]
	v_add_f64 v[20:21], v[44:45], v[32:33]
	v_add_f64 v[8:9], v[24:25], v[44:45]
	v_fmac_f64_e32 v[24:25], -0.5, v[20:21]
	v_fma_f64 v[20:21], s[14:15], v[28:29], v[24:25]
	v_fmac_f64_e32 v[24:25], s[22:23], v[28:29]
	v_fmac_f64_e32 v[20:21], s[26:27], v[26:27]
	v_fmac_f64_e32 v[24:25], s[8:9], v[26:27]
	v_mul_lo_u32 v26, v4, s5
	v_mad_u64_u32 v[4:5], s[0:1], v4, s4, 0
	s_lshl_b64 s[0:1], s[2:3], 4
	s_add_u32 s2, s10, s0
	s_addc_u32 s3, s11, s1
	s_lshl_b64 s[0:1], s[12:13], 4
	s_add_u32 s0, s2, s0
	v_add_f64 v[8:9], v[8:9], v[46:47]
	v_add3_u32 v5, v5, v26, v2
	s_addc_u32 s1, s3, s1
	v_add_f64 v[8:9], v[8:9], v[48:49]
	v_mul_lo_u32 v2, v0, s6
	v_lshl_add_u64 v[0:1], v[4:5], 4, s[0:1]
	s_mul_i32 s0, s6, 25
	v_add_f64 v[8:9], v[8:9], v[32:33]
	v_add_f64 v[30:31], v[46:47], -v[44:45]
	v_add_f64 v[32:33], v[48:49], -v[32:33]
	v_lshl_add_u64 v[4:5], v[2:3], 4, v[0:1]
	v_add_u32_e32 v2, s0, v2
	v_add_f64 v[30:31], v[30:31], v[32:33]
	global_store_dwordx4 v[4:5], v[6:9], off
	v_lshl_add_u64 v[4:5], v[2:3], 4, v[0:1]
	v_add_u32_e32 v2, s0, v2
	v_fmac_f64_e32 v[20:21], s[16:17], v[30:31]
	global_store_dwordx4 v[4:5], v[14:17], off
	v_lshl_add_u64 v[4:5], v[2:3], 4, v[0:1]
	v_add_u32_e32 v2, s0, v2
	global_store_dwordx4 v[4:5], v[18:21], off
	v_lshl_add_u64 v[4:5], v[2:3], 4, v[0:1]
	v_add_u32_e32 v2, s0, v2
	v_fmac_f64_e32 v[24:25], s[16:17], v[30:31]
	v_lshl_add_u64 v[0:1], v[2:3], 4, v[0:1]
	global_store_dwordx4 v[4:5], v[22:25], off
	global_store_dwordx4 v[0:1], v[10:13], off
	s_endpgm
	.section	.rodata,"a",@progbits
	.p2align	6, 0x0
	.amdhsa_kernel fft_rtc_fwd_len125_factors_5_5_5_wgs_250_tpt_25_dp_op_CI_CI_sbrc_xy_z_aligned_dirReg
		.amdhsa_group_segment_fixed_size 0
		.amdhsa_private_segment_fixed_size 0
		.amdhsa_kernarg_size 104
		.amdhsa_user_sgpr_count 2
		.amdhsa_user_sgpr_dispatch_ptr 0
		.amdhsa_user_sgpr_queue_ptr 0
		.amdhsa_user_sgpr_kernarg_segment_ptr 1
		.amdhsa_user_sgpr_dispatch_id 0
		.amdhsa_user_sgpr_kernarg_preload_length 0
		.amdhsa_user_sgpr_kernarg_preload_offset 0
		.amdhsa_user_sgpr_private_segment_size 0
		.amdhsa_uses_dynamic_stack 0
		.amdhsa_enable_private_segment 0
		.amdhsa_system_sgpr_workgroup_id_x 1
		.amdhsa_system_sgpr_workgroup_id_y 0
		.amdhsa_system_sgpr_workgroup_id_z 0
		.amdhsa_system_sgpr_workgroup_info 0
		.amdhsa_system_vgpr_workitem_id 0
		.amdhsa_next_free_vgpr 53
		.amdhsa_next_free_sgpr 32
		.amdhsa_accum_offset 56
		.amdhsa_reserve_vcc 1
		.amdhsa_float_round_mode_32 0
		.amdhsa_float_round_mode_16_64 0
		.amdhsa_float_denorm_mode_32 3
		.amdhsa_float_denorm_mode_16_64 3
		.amdhsa_dx10_clamp 1
		.amdhsa_ieee_mode 1
		.amdhsa_fp16_overflow 0
		.amdhsa_tg_split 0
		.amdhsa_exception_fp_ieee_invalid_op 0
		.amdhsa_exception_fp_denorm_src 0
		.amdhsa_exception_fp_ieee_div_zero 0
		.amdhsa_exception_fp_ieee_overflow 0
		.amdhsa_exception_fp_ieee_underflow 0
		.amdhsa_exception_fp_ieee_inexact 0
		.amdhsa_exception_int_div_zero 0
	.end_amdhsa_kernel
	.text
.Lfunc_end0:
	.size	fft_rtc_fwd_len125_factors_5_5_5_wgs_250_tpt_25_dp_op_CI_CI_sbrc_xy_z_aligned_dirReg, .Lfunc_end0-fft_rtc_fwd_len125_factors_5_5_5_wgs_250_tpt_25_dp_op_CI_CI_sbrc_xy_z_aligned_dirReg
                                        ; -- End function
	.section	.AMDGPU.csdata,"",@progbits
; Kernel info:
; codeLenInByte = 2876
; NumSgprs: 38
; NumVgprs: 53
; NumAgprs: 0
; TotalNumVgprs: 53
; ScratchSize: 0
; MemoryBound: 0
; FloatMode: 240
; IeeeMode: 1
; LDSByteSize: 0 bytes/workgroup (compile time only)
; SGPRBlocks: 4
; VGPRBlocks: 6
; NumSGPRsForWavesPerEU: 38
; NumVGPRsForWavesPerEU: 53
; AccumOffset: 56
; Occupancy: 8
; WaveLimiterHint : 1
; COMPUTE_PGM_RSRC2:SCRATCH_EN: 0
; COMPUTE_PGM_RSRC2:USER_SGPR: 2
; COMPUTE_PGM_RSRC2:TRAP_HANDLER: 0
; COMPUTE_PGM_RSRC2:TGID_X_EN: 1
; COMPUTE_PGM_RSRC2:TGID_Y_EN: 0
; COMPUTE_PGM_RSRC2:TGID_Z_EN: 0
; COMPUTE_PGM_RSRC2:TIDIG_COMP_CNT: 0
; COMPUTE_PGM_RSRC3_GFX90A:ACCUM_OFFSET: 13
; COMPUTE_PGM_RSRC3_GFX90A:TG_SPLIT: 0
	.text
	.p2alignl 6, 3212836864
	.fill 256, 4, 3212836864
	.type	__hip_cuid_1e30afed5f5e364f,@object ; @__hip_cuid_1e30afed5f5e364f
	.section	.bss,"aw",@nobits
	.globl	__hip_cuid_1e30afed5f5e364f
__hip_cuid_1e30afed5f5e364f:
	.byte	0                               ; 0x0
	.size	__hip_cuid_1e30afed5f5e364f, 1

	.ident	"AMD clang version 19.0.0git (https://github.com/RadeonOpenCompute/llvm-project roc-6.4.0 25133 c7fe45cf4b819c5991fe208aaa96edf142730f1d)"
	.section	".note.GNU-stack","",@progbits
	.addrsig
	.addrsig_sym __hip_cuid_1e30afed5f5e364f
	.amdgpu_metadata
---
amdhsa.kernels:
  - .agpr_count:     0
    .args:
      - .actual_access:  read_only
        .address_space:  global
        .offset:         0
        .size:           8
        .value_kind:     global_buffer
      - .offset:         8
        .size:           8
        .value_kind:     by_value
      - .actual_access:  read_only
        .address_space:  global
        .offset:         16
        .size:           8
        .value_kind:     global_buffer
      - .actual_access:  read_only
        .address_space:  global
        .offset:         24
        .size:           8
        .value_kind:     global_buffer
      - .actual_access:  read_only
        .address_space:  global
        .offset:         32
        .size:           8
        .value_kind:     global_buffer
      - .offset:         40
        .size:           8
        .value_kind:     by_value
      - .actual_access:  read_only
        .address_space:  global
        .offset:         48
        .size:           8
        .value_kind:     global_buffer
      - .actual_access:  read_only
        .address_space:  global
        .offset:         56
        .size:           8
        .value_kind:     global_buffer
      - .offset:         64
        .size:           4
        .value_kind:     by_value
      - .actual_access:  read_only
        .address_space:  global
        .offset:         72
        .size:           8
        .value_kind:     global_buffer
      - .actual_access:  read_only
        .address_space:  global
        .offset:         80
        .size:           8
        .value_kind:     global_buffer
      - .actual_access:  read_only
        .address_space:  global
        .offset:         88
        .size:           8
        .value_kind:     global_buffer
      - .actual_access:  write_only
        .address_space:  global
        .offset:         96
        .size:           8
        .value_kind:     global_buffer
    .group_segment_fixed_size: 0
    .kernarg_segment_align: 8
    .kernarg_segment_size: 104
    .language:       OpenCL C
    .language_version:
      - 2
      - 0
    .max_flat_workgroup_size: 250
    .name:           fft_rtc_fwd_len125_factors_5_5_5_wgs_250_tpt_25_dp_op_CI_CI_sbrc_xy_z_aligned_dirReg
    .private_segment_fixed_size: 0
    .sgpr_count:     38
    .sgpr_spill_count: 0
    .symbol:         fft_rtc_fwd_len125_factors_5_5_5_wgs_250_tpt_25_dp_op_CI_CI_sbrc_xy_z_aligned_dirReg.kd
    .uniform_work_group_size: 1
    .uses_dynamic_stack: false
    .vgpr_count:     53
    .vgpr_spill_count: 0
    .wavefront_size: 64
amdhsa.target:   amdgcn-amd-amdhsa--gfx950
amdhsa.version:
  - 1
  - 2
...

	.end_amdgpu_metadata
